;; amdgpu-corpus repo=ROCm/rocFFT kind=compiled arch=gfx906 opt=O3
	.text
	.amdgcn_target "amdgcn-amd-amdhsa--gfx906"
	.amdhsa_code_object_version 6
	.protected	fft_rtc_back_len64_factors_8_8_wgs_256_tpt_8_sp_ip_CI_sbcc_twdbase8_3step_dirReg ; -- Begin function fft_rtc_back_len64_factors_8_8_wgs_256_tpt_8_sp_ip_CI_sbcc_twdbase8_3step_dirReg
	.globl	fft_rtc_back_len64_factors_8_8_wgs_256_tpt_8_sp_ip_CI_sbcc_twdbase8_3step_dirReg
	.p2align	8
	.type	fft_rtc_back_len64_factors_8_8_wgs_256_tpt_8_sp_ip_CI_sbcc_twdbase8_3step_dirReg,@function
fft_rtc_back_len64_factors_8_8_wgs_256_tpt_8_sp_ip_CI_sbcc_twdbase8_3step_dirReg: ; @fft_rtc_back_len64_factors_8_8_wgs_256_tpt_8_sp_ip_CI_sbcc_twdbase8_3step_dirReg
; %bb.0:
	s_load_dwordx4 s[0:3], s[4:5], 0x18
	s_mov_b32 s7, 0
	s_mov_b64 s[24:25], 0
	s_waitcnt lgkmcnt(0)
	s_load_dwordx2 s[20:21], s[0:1], 0x8
	s_waitcnt lgkmcnt(0)
	s_add_u32 s8, s20, -1
	s_addc_u32 s9, s21, -1
	s_lshr_b64 s[8:9], s[8:9], 5
	s_add_u32 s22, s8, 1
	s_addc_u32 s23, s9, 0
	v_mov_b32_e32 v1, s22
	v_mov_b32_e32 v2, s23
	v_cmp_lt_u64_e32 vcc, s[6:7], v[1:2]
	s_cbranch_vccnz .LBB0_2
; %bb.1:
	v_cvt_f32_u32_e32 v1, s22
	s_sub_i32 s8, 0, s22
	s_mov_b32 s25, s7
	v_rcp_iflag_f32_e32 v1, v1
	v_mul_f32_e32 v1, 0x4f7ffffe, v1
	v_cvt_u32_f32_e32 v1, v1
	v_readfirstlane_b32 s9, v1
	s_mul_i32 s8, s8, s9
	s_mul_hi_u32 s8, s9, s8
	s_add_i32 s9, s9, s8
	s_mul_hi_u32 s8, s6, s9
	s_mul_i32 s10, s8, s22
	s_sub_i32 s10, s6, s10
	s_add_i32 s9, s8, 1
	s_sub_i32 s11, s10, s22
	s_cmp_ge_u32 s10, s22
	s_cselect_b32 s8, s9, s8
	s_cselect_b32 s10, s11, s10
	s_add_i32 s9, s8, 1
	s_cmp_ge_u32 s10, s22
	s_cselect_b32 s24, s9, s8
.LBB0_2:
	s_load_dwordx2 s[16:17], s[4:5], 0x58
	s_load_dwordx4 s[8:11], s[2:3], 0x0
	s_mul_i32 s12, s24, s23
	s_mul_hi_u32 s13, s24, s22
	s_add_i32 s13, s13, s12
	s_mul_i32 s12, s24, s22
	s_sub_u32 s26, s6, s12
	s_subb_u32 s27, 0, s13
	v_mov_b32_e32 v1, s26
	v_alignbit_b32 v1, s27, v1, 27
	s_waitcnt lgkmcnt(0)
	v_mul_lo_u32 v1, s10, v1
	s_load_dwordx2 s[18:19], s[4:5], 0x0
	s_load_dwordx4 s[12:15], s[4:5], 0x8
	s_lshl_b64 s[4:5], s[26:27], 5
	s_mul_hi_u32 s26, s10, s4
	v_add_u32_e32 v1, s26, v1
	s_mul_i32 s26, s11, s4
	v_add_u32_e32 v3, s26, v1
	s_waitcnt lgkmcnt(0)
	v_cmp_lt_u64_e64 s[26:27], s[14:15], 3
	s_mul_i32 s28, s10, s4
	v_mov_b32_e32 v4, s28
	s_and_b64 vcc, exec, s[26:27]
	s_cbranch_vccnz .LBB0_11
; %bb.3:
	s_add_u32 s26, s2, 16
	s_addc_u32 s27, s3, 0
	s_add_u32 s28, s0, 16
	v_mov_b32_e32 v1, s14
	s_addc_u32 s29, s1, 0
	s_mov_b64 s[30:31], 2
	s_mov_b32 s34, 0
	v_mov_b32_e32 v2, s15
	s_branch .LBB0_5
.LBB0_4:                                ;   in Loop: Header=BB0_5 Depth=1
	s_mul_i32 s23, s36, s23
	s_mul_hi_u32 s33, s36, s22
	s_add_i32 s23, s33, s23
	s_mul_i32 s33, s37, s22
	s_add_i32 s23, s23, s33
	s_mul_i32 s33, s0, s37
	s_mul_hi_u32 s35, s0, s36
	s_load_dwordx2 s[38:39], s[26:27], 0x0
	s_add_i32 s33, s35, s33
	s_mul_i32 s35, s1, s36
	s_add_i32 s33, s33, s35
	s_mul_i32 s35, s0, s36
	s_sub_u32 s24, s24, s35
	s_subb_u32 s25, s25, s33
	s_waitcnt lgkmcnt(0)
	s_mul_i32 s25, s38, s25
	s_mul_hi_u32 s33, s38, s24
	s_add_i32 s25, s33, s25
	s_mul_i32 s33, s39, s24
	s_add_i32 s25, s25, s33
	s_mul_i32 s24, s38, s24
	s_add_u32 s30, s30, 1
	v_mov_b32_e32 v5, s25
	v_add_co_u32_e32 v4, vcc, s24, v4
	s_addc_u32 s31, s31, 0
	v_addc_co_u32_e32 v3, vcc, v5, v3, vcc
	s_add_u32 s26, s26, 8
	s_addc_u32 s27, s27, 0
	v_cmp_ge_u64_e32 vcc, s[30:31], v[1:2]
	s_add_u32 s28, s28, 8
	s_mul_i32 s22, s36, s22
	s_addc_u32 s29, s29, 0
	s_mov_b64 s[24:25], s[0:1]
	s_cbranch_vccnz .LBB0_9
.LBB0_5:                                ; =>This Inner Loop Header: Depth=1
	s_load_dwordx2 s[36:37], s[28:29], 0x0
	s_waitcnt lgkmcnt(0)
	s_or_b64 s[0:1], s[24:25], s[36:37]
	s_mov_b32 s35, s1
	s_cmp_lg_u64 s[34:35], 0
	s_cbranch_scc0 .LBB0_7
; %bb.6:                                ;   in Loop: Header=BB0_5 Depth=1
	v_cvt_f32_u32_e32 v5, s36
	v_cvt_f32_u32_e32 v6, s37
	s_sub_u32 s0, 0, s36
	s_subb_u32 s1, 0, s37
	v_mac_f32_e32 v5, 0x4f800000, v6
	v_rcp_f32_e32 v5, v5
	v_mul_f32_e32 v5, 0x5f7ffffc, v5
	v_mul_f32_e32 v6, 0x2f800000, v5
	v_trunc_f32_e32 v6, v6
	v_mac_f32_e32 v5, 0xcf800000, v6
	v_cvt_u32_f32_e32 v6, v6
	v_cvt_u32_f32_e32 v5, v5
	v_readfirstlane_b32 s33, v6
	v_readfirstlane_b32 s35, v5
	s_mul_i32 s38, s0, s33
	s_mul_hi_u32 s40, s0, s35
	s_mul_i32 s39, s1, s35
	s_add_i32 s38, s40, s38
	s_mul_i32 s41, s0, s35
	s_add_i32 s38, s38, s39
	s_mul_hi_u32 s39, s35, s38
	s_mul_i32 s40, s35, s38
	s_mul_hi_u32 s35, s35, s41
	s_add_u32 s35, s35, s40
	s_addc_u32 s39, 0, s39
	s_mul_hi_u32 s42, s33, s41
	s_mul_i32 s41, s33, s41
	s_add_u32 s35, s35, s41
	s_mul_hi_u32 s40, s33, s38
	s_addc_u32 s35, s39, s42
	s_addc_u32 s39, s40, 0
	s_mul_i32 s38, s33, s38
	s_add_u32 s35, s35, s38
	s_addc_u32 s38, 0, s39
	v_add_co_u32_e32 v5, vcc, s35, v5
	s_cmp_lg_u64 vcc, 0
	s_addc_u32 s33, s33, s38
	v_readfirstlane_b32 s38, v5
	s_mul_i32 s35, s0, s33
	s_mul_hi_u32 s39, s0, s38
	s_add_i32 s35, s39, s35
	s_mul_i32 s1, s1, s38
	s_add_i32 s35, s35, s1
	s_mul_i32 s0, s0, s38
	s_mul_hi_u32 s39, s33, s0
	s_mul_i32 s40, s33, s0
	s_mul_i32 s42, s38, s35
	s_mul_hi_u32 s0, s38, s0
	s_mul_hi_u32 s41, s38, s35
	s_add_u32 s0, s0, s42
	s_addc_u32 s38, 0, s41
	s_add_u32 s0, s0, s40
	s_mul_hi_u32 s1, s33, s35
	s_addc_u32 s0, s38, s39
	s_addc_u32 s1, s1, 0
	s_mul_i32 s35, s33, s35
	s_add_u32 s0, s0, s35
	s_addc_u32 s1, 0, s1
	v_add_co_u32_e32 v5, vcc, s0, v5
	s_cmp_lg_u64 vcc, 0
	s_addc_u32 s0, s33, s1
	v_readfirstlane_b32 s35, v5
	s_mul_i32 s33, s24, s0
	s_mul_hi_u32 s38, s24, s35
	s_mul_hi_u32 s1, s24, s0
	s_add_u32 s33, s38, s33
	s_addc_u32 s1, 0, s1
	s_mul_hi_u32 s39, s25, s35
	s_mul_i32 s35, s25, s35
	s_add_u32 s33, s33, s35
	s_mul_hi_u32 s38, s25, s0
	s_addc_u32 s1, s1, s39
	s_addc_u32 s33, s38, 0
	s_mul_i32 s0, s25, s0
	s_add_u32 s35, s1, s0
	s_addc_u32 s33, 0, s33
	s_mul_i32 s0, s36, s33
	s_mul_hi_u32 s1, s36, s35
	s_add_i32 s0, s1, s0
	s_mul_i32 s1, s37, s35
	s_add_i32 s38, s0, s1
	s_mul_i32 s1, s36, s35
	v_mov_b32_e32 v5, s1
	s_sub_i32 s0, s25, s38
	v_sub_co_u32_e32 v5, vcc, s24, v5
	s_cmp_lg_u64 vcc, 0
	s_subb_u32 s39, s0, s37
	v_subrev_co_u32_e64 v6, s[0:1], s36, v5
	s_cmp_lg_u64 s[0:1], 0
	s_subb_u32 s0, s39, 0
	s_cmp_ge_u32 s0, s37
	v_readfirstlane_b32 s39, v6
	s_cselect_b32 s1, -1, 0
	s_cmp_ge_u32 s39, s36
	s_cselect_b32 s39, -1, 0
	s_cmp_eq_u32 s0, s37
	s_cselect_b32 s0, s39, s1
	s_add_u32 s1, s35, 1
	s_addc_u32 s39, s33, 0
	s_add_u32 s40, s35, 2
	s_addc_u32 s41, s33, 0
	s_cmp_lg_u32 s0, 0
	s_cselect_b32 s0, s40, s1
	s_cselect_b32 s1, s41, s39
	s_cmp_lg_u64 vcc, 0
	s_subb_u32 s38, s25, s38
	s_cmp_ge_u32 s38, s37
	v_readfirstlane_b32 s40, v5
	s_cselect_b32 s39, -1, 0
	s_cmp_ge_u32 s40, s36
	s_cselect_b32 s40, -1, 0
	s_cmp_eq_u32 s38, s37
	s_cselect_b32 s38, s40, s39
	s_cmp_lg_u32 s38, 0
	s_cselect_b32 s1, s1, s33
	s_cselect_b32 s0, s0, s35
	s_cbranch_execnz .LBB0_4
	s_branch .LBB0_8
.LBB0_7:                                ;   in Loop: Header=BB0_5 Depth=1
                                        ; implicit-def: $sgpr0_sgpr1
.LBB0_8:                                ;   in Loop: Header=BB0_5 Depth=1
	v_cvt_f32_u32_e32 v5, s36
	s_sub_i32 s0, 0, s36
	v_rcp_iflag_f32_e32 v5, v5
	v_mul_f32_e32 v5, 0x4f7ffffe, v5
	v_cvt_u32_f32_e32 v5, v5
	v_readfirstlane_b32 s1, v5
	s_mul_i32 s0, s0, s1
	s_mul_hi_u32 s0, s1, s0
	s_add_i32 s1, s1, s0
	s_mul_hi_u32 s0, s24, s1
	s_mul_i32 s33, s0, s36
	s_sub_i32 s33, s24, s33
	s_add_i32 s1, s0, 1
	s_sub_i32 s35, s33, s36
	s_cmp_ge_u32 s33, s36
	s_cselect_b32 s0, s1, s0
	s_cselect_b32 s33, s35, s33
	s_add_i32 s1, s0, 1
	s_cmp_ge_u32 s33, s36
	s_cselect_b32 s0, s1, s0
	s_mov_b32 s1, s34
	s_branch .LBB0_4
.LBB0_9:
	v_mov_b32_e32 v1, s22
	v_mov_b32_e32 v2, s23
	v_cmp_lt_u64_e32 vcc, s[6:7], v[1:2]
	s_mov_b64 s[24:25], 0
	s_cbranch_vccnz .LBB0_11
; %bb.10:
	v_cvt_f32_u32_e32 v1, s22
	s_sub_i32 s0, 0, s22
	v_rcp_iflag_f32_e32 v1, v1
	v_mul_f32_e32 v1, 0x4f7ffffe, v1
	v_cvt_u32_f32_e32 v1, v1
	v_readfirstlane_b32 s1, v1
	s_mul_i32 s0, s0, s1
	s_mul_hi_u32 s0, s1, s0
	s_add_i32 s1, s1, s0
	s_mul_hi_u32 s0, s6, s1
	s_mul_i32 s7, s0, s22
	s_sub_i32 s6, s6, s7
	s_add_i32 s1, s0, 1
	s_sub_i32 s7, s6, s22
	s_cmp_ge_u32 s6, s22
	s_cselect_b32 s0, s1, s0
	s_cselect_b32 s6, s7, s6
	s_add_i32 s1, s0, 1
	s_cmp_ge_u32 s6, s22
	s_cselect_b32 s24, s1, s0
.LBB0_11:
	s_lshl_b64 s[0:1], s[14:15], 3
	s_add_u32 s0, s2, s0
	s_addc_u32 s1, s3, s1
	s_load_dwordx2 s[0:1], s[0:1], 0x0
	v_and_b32_e32 v20, 31, v0
	v_mov_b32_e32 v5, s20
	v_mov_b32_e32 v6, s21
	v_lshrrev_b32_e32 v21, 5, v0
	s_waitcnt lgkmcnt(0)
	s_mul_i32 s1, s1, s24
	s_mul_hi_u32 s2, s0, s24
	s_mul_i32 s0, s0, s24
	s_add_i32 s1, s2, s1
	v_mov_b32_e32 v2, s1
	v_add_co_u32_e32 v1, vcc, s0, v4
	s_add_u32 s0, s4, 32
	v_addc_co_u32_e32 v2, vcc, v2, v3, vcc
	v_or_b32_e32 v3, s4, v20
	v_mov_b32_e32 v4, s5
	s_addc_u32 s1, s5, 0
	v_cmp_le_u64_e32 vcc, s[0:1], v[5:6]
	v_cmp_gt_u64_e64 s[0:1], s[20:21], v[3:4]
	v_lshlrev_b64 v[1:2], 3, v[1:2]
	s_or_b64 s[0:1], vcc, s[0:1]
                                        ; implicit-def: $vgpr9
                                        ; implicit-def: $vgpr5
                                        ; implicit-def: $vgpr11
                                        ; implicit-def: $vgpr7
                                        ; implicit-def: $vgpr17
                                        ; implicit-def: $vgpr13
                                        ; implicit-def: $vgpr19
                                        ; implicit-def: $vgpr15
	s_and_saveexec_b64 s[2:3], s[0:1]
	s_cbranch_execz .LBB0_13
; %bb.12:
	v_mad_u64_u32 v[4:5], s[4:5], s10, v20, 0
	v_mad_u64_u32 v[6:7], s[4:5], s8, v21, 0
	v_add_u32_e32 v12, 8, v21
	v_mad_u64_u32 v[8:9], s[4:5], s11, v20, v[5:6]
	v_mov_b32_e32 v5, v7
	v_mad_u64_u32 v[9:10], s[4:5], s9, v21, v[5:6]
	v_mov_b32_e32 v5, v8
	v_mov_b32_e32 v8, s17
	v_add_co_u32_e32 v10, vcc, s16, v1
	v_mov_b32_e32 v7, v9
	v_addc_co_u32_e32 v11, vcc, v8, v2, vcc
	v_mad_u64_u32 v[8:9], s[4:5], s8, v12, 0
	v_lshlrev_b64 v[4:5], 3, v[4:5]
	v_add_co_u32_e32 v13, vcc, v10, v4
	v_addc_co_u32_e32 v14, vcc, v11, v5, vcc
	v_lshlrev_b64 v[4:5], 3, v[6:7]
	v_mov_b32_e32 v6, v9
	v_mad_u64_u32 v[6:7], s[4:5], s9, v12, v[6:7]
	v_add_u32_e32 v7, 16, v21
	v_mad_u64_u32 v[10:11], s[4:5], s8, v7, 0
	v_add_co_u32_e32 v22, vcc, v13, v4
	v_mov_b32_e32 v9, v6
	v_mov_b32_e32 v6, v11
	v_addc_co_u32_e32 v23, vcc, v14, v5, vcc
	v_lshlrev_b64 v[4:5], 3, v[8:9]
	v_mad_u64_u32 v[6:7], s[4:5], s9, v7, v[6:7]
	v_add_u32_e32 v9, 24, v21
	v_mad_u64_u32 v[7:8], s[4:5], s8, v9, 0
	v_add_co_u32_e32 v24, vcc, v13, v4
	v_mov_b32_e32 v11, v6
	v_mov_b32_e32 v6, v8
	v_addc_co_u32_e32 v25, vcc, v14, v5, vcc
	v_lshlrev_b64 v[4:5], 3, v[10:11]
	v_mad_u64_u32 v[8:9], s[4:5], s9, v9, v[6:7]
	v_or_b32_e32 v11, 32, v21
	v_mad_u64_u32 v[9:10], s[4:5], s8, v11, 0
	v_add_co_u32_e32 v26, vcc, v13, v4
	v_mov_b32_e32 v6, v10
	v_addc_co_u32_e32 v27, vcc, v14, v5, vcc
	v_lshlrev_b64 v[4:5], 3, v[7:8]
	v_mad_u64_u32 v[6:7], s[4:5], s9, v11, v[6:7]
	v_add_u32_e32 v11, 40, v21
	v_mad_u64_u32 v[7:8], s[4:5], s8, v11, 0
	v_add_co_u32_e32 v28, vcc, v13, v4
	v_mov_b32_e32 v10, v6
	v_mov_b32_e32 v6, v8
	v_addc_co_u32_e32 v29, vcc, v14, v5, vcc
	v_lshlrev_b64 v[4:5], 3, v[9:10]
	v_mad_u64_u32 v[8:9], s[4:5], s9, v11, v[6:7]
	v_add_u32_e32 v11, 48, v21
	v_mad_u64_u32 v[9:10], s[4:5], s8, v11, 0
	v_add_co_u32_e32 v30, vcc, v13, v4
	v_mov_b32_e32 v6, v10
	v_addc_co_u32_e32 v31, vcc, v14, v5, vcc
	v_lshlrev_b64 v[4:5], 3, v[7:8]
	v_mad_u64_u32 v[6:7], s[4:5], s9, v11, v[6:7]
	v_add_u32_e32 v11, 56, v21
	v_mad_u64_u32 v[7:8], s[4:5], s8, v11, 0
	v_add_co_u32_e32 v32, vcc, v13, v4
	v_mov_b32_e32 v10, v6
	v_mov_b32_e32 v6, v8
	v_addc_co_u32_e32 v33, vcc, v14, v5, vcc
	v_lshlrev_b64 v[4:5], 3, v[9:10]
	v_mad_u64_u32 v[8:9], s[4:5], s9, v11, v[6:7]
	v_add_co_u32_e32 v34, vcc, v13, v4
	v_addc_co_u32_e32 v35, vcc, v14, v5, vcc
	v_lshlrev_b64 v[4:5], 3, v[7:8]
	v_add_co_u32_e32 v36, vcc, v13, v4
	v_addc_co_u32_e32 v37, vcc, v14, v5, vcc
	global_load_dwordx2 v[8:9], v[22:23], off
	global_load_dwordx2 v[4:5], v[24:25], off
	;; [unrolled: 1-line block ×8, first 2 shown]
.LBB0_13:
	s_or_b64 exec, exec, s[2:3]
	s_waitcnt vmcnt(3)
	v_sub_f32_e32 v16, v8, v16
	v_sub_f32_e32 v17, v9, v17
	s_waitcnt vmcnt(1)
	v_sub_f32_e32 v18, v10, v18
	v_sub_f32_e32 v19, v11, v19
	;; [unrolled: 1-line block ×4, first 2 shown]
	s_waitcnt vmcnt(0)
	v_sub_f32_e32 v14, v6, v14
	v_sub_f32_e32 v15, v7, v15
	v_fma_f32 v8, v8, 2.0, -v16
	v_fma_f32 v9, v9, 2.0, -v17
	;; [unrolled: 1-line block ×8, first 2 shown]
	v_add_f32_e32 v19, v16, v19
	v_sub_f32_e32 v24, v17, v18
	v_sub_f32_e32 v22, v8, v10
	v_sub_f32_e32 v23, v9, v11
	v_fma_f32 v11, v16, 2.0, -v19
	v_fma_f32 v16, v17, 2.0, -v24
	v_sub_f32_e32 v6, v4, v6
	v_sub_f32_e32 v17, v5, v7
	v_fma_f32 v8, v8, 2.0, -v22
	v_fma_f32 v9, v9, 2.0, -v23
	;; [unrolled: 1-line block ×4, first 2 shown]
	v_add_f32_e32 v25, v12, v15
	v_sub_f32_e32 v4, v8, v4
	v_sub_f32_e32 v5, v9, v5
	;; [unrolled: 1-line block ×3, first 2 shown]
	v_fma_f32 v12, v12, 2.0, -v25
	v_fma_f32 v7, v8, 2.0, -v4
	;; [unrolled: 1-line block ×3, first 2 shown]
	v_mov_b32_e32 v9, v11
	v_fma_f32 v13, v13, 2.0, -v26
	v_fmac_f32_e32 v9, 0xbf3504f3, v12
	v_mov_b32_e32 v10, v16
	v_fmac_f32_e32 v10, 0xbf3504f3, v13
	v_fmac_f32_e32 v9, 0x3f3504f3, v13
	v_add_f32_e32 v13, v22, v17
	v_mov_b32_e32 v17, v19
	v_fmac_f32_e32 v17, 0x3f3504f3, v25
	v_mov_b32_e32 v18, v24
	v_fmac_f32_e32 v10, 0xbf3504f3, v12
	v_sub_f32_e32 v14, v23, v6
	v_fmac_f32_e32 v18, 0x3f3504f3, v26
	v_fmac_f32_e32 v17, 0x3f3504f3, v26
	v_lshl_add_u32 v6, v21, 11, 0
	v_fma_f32 v11, v11, 2.0, -v9
	v_fma_f32 v12, v16, 2.0, -v10
	;; [unrolled: 1-line block ×3, first 2 shown]
	v_fmac_f32_e32 v18, 0xbf3504f3, v25
	v_fma_f32 v22, v19, 2.0, -v17
	v_lshl_add_u32 v19, v20, 3, v6
	v_fma_f32 v16, v23, 2.0, -v14
	v_fma_f32 v23, v24, 2.0, -v18
	ds_write2_b64 v19, v[7:8], v[11:12] offset1:32
	ds_write2_b64 v19, v[15:16], v[22:23] offset0:64 offset1:96
	ds_write2_b64 v19, v[4:5], v[9:10] offset0:128 offset1:160
	;; [unrolled: 1-line block ×3, first 2 shown]
	s_waitcnt lgkmcnt(0)
	s_barrier
	s_and_saveexec_b64 s[2:3], s[0:1]
	s_cbranch_execz .LBB0_15
; %bb.14:
	v_bfe_u32 v4, v0, 5, 3
	v_mul_u32_u24_e32 v5, 7, v4
	v_lshlrev_b32_e32 v15, 3, v5
	global_load_dwordx4 v[7:10], v15, s[18:19] offset:32
	global_load_dwordx2 v[29:30], v15, s[18:19] offset:48
	global_load_dwordx4 v[11:14], v15, s[18:19] offset:16
	v_or_b32_e32 v19, 56, v21
	v_mul_lo_u32 v19, v3, v19
	v_or_b32_e32 v22, 48, v4
	v_mul_lo_u32 v51, v3, v22
	v_mov_b32_e32 v5, 3
	v_or_b32_e32 v23, 40, v4
	v_lshlrev_b32_sdwa v22, v5, v19 dst_sel:DWORD dst_unused:UNUSED_PAD src0_sel:DWORD src1_sel:BYTE_0
	global_load_dwordx4 v[15:18], v15, s[18:19]
	v_mul_lo_u32 v52, v3, v23
	v_lshlrev_b32_sdwa v23, v5, v19 dst_sel:DWORD dst_unused:UNUSED_PAD src0_sel:DWORD src1_sel:BYTE_1
	global_load_dwordx2 v[31:32], v22, s[12:13]
	global_load_dwordx2 v[33:34], v23, s[12:13] offset:2048
	v_lshlrev_b32_sdwa v22, v5, v51 dst_sel:DWORD dst_unused:UNUSED_PAD src0_sel:DWORD src1_sel:BYTE_0
	v_lshlrev_b32_sdwa v23, v5, v51 dst_sel:DWORD dst_unused:UNUSED_PAD src0_sel:DWORD src1_sel:BYTE_1
	global_load_dwordx2 v[35:36], v22, s[12:13]
	global_load_dwordx2 v[37:38], v23, s[12:13] offset:2048
	v_or_b32_e32 v22, 32, v4
	v_mul_lo_u32 v53, v3, v22
	v_lshlrev_b32_sdwa v22, v5, v52 dst_sel:DWORD dst_unused:UNUSED_PAD src0_sel:DWORD src1_sel:BYTE_0
	v_lshlrev_b32_sdwa v23, v5, v52 dst_sel:DWORD dst_unused:UNUSED_PAD src0_sel:DWORD src1_sel:BYTE_1
	global_load_dwordx2 v[39:40], v22, s[12:13]
	global_load_dwordx2 v[41:42], v23, s[12:13] offset:2048
	v_lshlrev_b32_sdwa v22, v5, v53 dst_sel:DWORD dst_unused:UNUSED_PAD src0_sel:DWORD src1_sel:BYTE_0
	v_lshlrev_b32_sdwa v23, v5, v53 dst_sel:DWORD dst_unused:UNUSED_PAD src0_sel:DWORD src1_sel:BYTE_1
	global_load_dwordx2 v[43:44], v22, s[12:13]
	global_load_dwordx2 v[45:46], v23, s[12:13] offset:2048
	v_or_b32_e32 v22, 24, v21
	v_mul_lo_u32 v54, v3, v22
	v_mul_i32_i24_e32 v21, 0xfffff900, v21
	v_mov_b32_e32 v56, 0x1000
	v_lshrrev_b32_e32 v0, 2, v0
	v_lshlrev_b32_sdwa v22, v5, v54 dst_sel:DWORD dst_unused:UNUSED_PAD src0_sel:DWORD src1_sel:BYTE_0
	v_lshlrev_b32_sdwa v23, v5, v54 dst_sel:DWORD dst_unused:UNUSED_PAD src0_sel:DWORD src1_sel:BYTE_1
	global_load_dwordx2 v[47:48], v22, s[12:13]
	global_load_dwordx2 v[49:50], v23, s[12:13] offset:2048
	v_lshlrev_b32_e32 v22, 3, v20
	v_add3_u32 v55, v6, v21, v22
	ds_read2st64_b64 v[21:24], v55 offset0:24 offset1:28
	ds_read2st64_b64 v[25:28], v55 offset0:16 offset1:20
	s_waitcnt vmcnt(13) lgkmcnt(1)
	v_mul_f32_e32 v57, v22, v10
	s_waitcnt vmcnt(12)
	v_mul_f32_e32 v6, v23, v30
	v_fma_f32 v59, v24, v29, -v6
	v_mul_f32_e32 v6, v10, v21
	s_waitcnt lgkmcnt(0)
	v_mul_f32_e32 v10, v8, v27
	v_mul_f32_e32 v61, v8, v28
	;; [unrolled: 1-line block ×3, first 2 shown]
	v_fmac_f32_e32 v57, v9, v21
	v_fma_f32 v60, v22, v9, -v6
	v_fma_f32 v62, v7, v28, -v10
	v_fmac_f32_e32 v61, v7, v27
	ds_read2st64_b64 v[6:9], v55 offset0:8 offset1:12
	v_fmac_f32_e32 v58, v23, v29
	ds_read2st64_b64 v[21:24], v55 offset1:4
	s_waitcnt vmcnt(11)
	v_mul_f32_e32 v10, v14, v25
	v_mul_f32_e32 v63, v14, v26
	v_fma_f32 v64, v13, v26, -v10
	v_bfe_u32 v10, v19, 16, 8
	v_fmac_f32_e32 v63, v13, v25
	v_lshl_or_b32 v13, v10, 3, v56
	v_bfe_u32 v10, v51, 16, 8
	v_lshl_or_b32 v19, v10, 3, v56
	s_waitcnt lgkmcnt(1)
	v_mul_f32_e32 v51, v12, v9
	v_mul_f32_e32 v10, v12, v8
	s_waitcnt vmcnt(10)
	v_mul_f32_e32 v12, v18, v6
	v_fma_f32 v65, v17, v7, -v12
	s_waitcnt lgkmcnt(0)
	v_mul_f32_e32 v12, v16, v23
	v_mul_f32_e32 v66, v16, v24
	v_fma_f32 v67, v15, v24, -v12
	v_fmac_f32_e32 v66, v15, v23
	s_waitcnt vmcnt(8)
	v_mul_f32_e32 v12, v32, v34
	v_or_b32_e32 v15, 16, v4
	v_mul_f32_e32 v55, v18, v7
	v_mul_f32_e32 v34, v31, v34
	v_fma_f32 v31, v31, v33, -v12
	s_waitcnt vmcnt(6)
	v_mul_f32_e32 v12, v36, v38
	v_mul_lo_u32 v18, v3, v15
	v_bfe_u32 v14, v52, 16, 8
	v_fmac_f32_e32 v34, v32, v33
	v_fma_f32 v33, v35, v37, -v12
	v_bfe_u32 v12, v53, 16, 8
	v_lshl_or_b32 v14, v14, 3, v56
	v_lshl_or_b32 v12, v12, 3, v56
	v_fmac_f32_e32 v51, v11, v8
	v_fma_f32 v52, v11, v9, -v10
	global_load_dwordx2 v[8:9], v19, s[12:13]
	global_load_dwordx2 v[10:11], v13, s[12:13]
	v_fmac_f32_e32 v55, v17, v6
	global_load_dwordx2 v[6:7], v14, s[12:13]
	v_mul_f32_e32 v32, v35, v38
	global_load_dwordx2 v[12:13], v12, s[12:13]
	s_waitcnt vmcnt(8)
	v_mul_f32_e32 v14, v40, v42
	v_fma_f32 v35, v39, v41, -v14
	s_waitcnt vmcnt(6)
	v_mul_f32_e32 v14, v44, v46
	v_lshlrev_b32_sdwa v19, v5, v18 dst_sel:DWORD dst_unused:UNUSED_PAD src0_sel:DWORD src1_sel:BYTE_0
	v_lshlrev_b32_sdwa v23, v5, v18 dst_sel:DWORD dst_unused:UNUSED_PAD src0_sel:DWORD src1_sel:BYTE_1
	v_bfe_u32 v18, v18, 16, 8
	v_fmac_f32_e32 v32, v36, v37
	v_fma_f32 v37, v43, v45, -v14
	global_load_dwordx2 v[14:15], v19, s[12:13]
	global_load_dwordx2 v[16:17], v23, s[12:13] offset:2048
	v_bfe_u32 v19, v54, 16, 8
	v_lshl_or_b32 v26, v18, 3, v56
	v_lshl_or_b32 v25, v19, 3, v56
	global_load_dwordx2 v[18:19], v26, s[12:13]
	global_load_dwordx2 v[23:24], v25, s[12:13]
	v_or_b32_e32 v26, 8, v4
	v_mul_lo_u32 v29, v3, v26
	v_mul_f32_e32 v36, v39, v42
	v_fmac_f32_e32 v36, v40, v41
	s_waitcnt vmcnt(8)
	v_mul_f32_e32 v25, v48, v50
	v_lshlrev_b32_sdwa v41, v5, v29 dst_sel:DWORD dst_unused:UNUSED_PAD src0_sel:DWORD src1_sel:BYTE_1
	v_fma_f32 v39, v47, v49, -v25
	v_lshlrev_b32_sdwa v30, v5, v29 dst_sel:DWORD dst_unused:UNUSED_PAD src0_sel:DWORD src1_sel:BYTE_0
	global_load_dwordx2 v[25:26], v41, s[12:13] offset:2048
	global_load_dwordx2 v[27:28], v30, s[12:13]
	v_mul_lo_u32 v3, v3, v4
	v_mul_f32_e32 v38, v43, v46
	v_bfe_u32 v29, v29, 16, 8
	v_lshl_or_b32 v29, v29, 3, v56
	global_load_dwordx2 v[29:30], v29, s[12:13]
	v_mul_f32_e32 v40, v47, v50
	v_fmac_f32_e32 v40, v48, v49
	v_sub_f32_e32 v49, v65, v60
	v_sub_f32_e32 v46, v51, v58
	;; [unrolled: 1-line block ×3, first 2 shown]
	v_fmac_f32_e32 v38, v44, v45
	v_sub_f32_e32 v44, v55, v57
	v_sub_f32_e32 v45, v67, v62
	;; [unrolled: 1-line block ×3, first 2 shown]
	s_waitcnt vmcnt(5)
	v_mul_f32_e32 v41, v15, v17
	v_mul_f32_e32 v42, v14, v17
	v_fma_f32 v41, v14, v16, -v41
	v_fmac_f32_e32 v42, v15, v16
	v_bfe_u32 v16, v3, 16, 8
	v_lshlrev_b32_sdwa v14, v5, v3 dst_sel:DWORD dst_unused:UNUSED_PAD src0_sel:DWORD src1_sel:BYTE_1
	v_lshl_or_b32 v16, v16, 3, v56
	global_load_dwordx2 v[16:17], v16, s[12:13]
	v_lshlrev_b32_sdwa v3, v5, v3 dst_sel:DWORD dst_unused:UNUSED_PAD src0_sel:DWORD src1_sel:BYTE_0
	global_load_dwordx2 v[14:15], v14, s[12:13] offset:2048
	s_waitcnt vmcnt(3)
	v_mul_f32_e32 v43, v28, v26
	v_fma_f32 v43, v27, v25, -v43
	v_mul_f32_e32 v27, v27, v26
	v_fmac_f32_e32 v27, v28, v25
	global_load_dwordx2 v[25:26], v3, s[12:13]
	s_waitcnt vmcnt(0)
	v_mul_f32_e32 v5, v25, v15
	v_mul_f32_e32 v3, v26, v15
	v_fmac_f32_e32 v5, v26, v14
	v_sub_f32_e32 v26, v21, v63
	v_fma_f32 v3, v25, v14, -v3
	v_sub_f32_e32 v25, v22, v64
	v_fma_f32 v15, v21, 2.0, -v26
	v_mul_f32_e32 v21, v5, v17
	v_fma_f32 v14, v22, 2.0, -v25
	v_fma_f32 v22, v16, v3, -v21
	v_mul_f32_e32 v28, v3, v17
	v_fma_f32 v3, v65, 2.0, -v49
	v_fmac_f32_e32 v28, v16, v5
	v_sub_f32_e32 v50, v14, v3
	v_fma_f32 v3, v66, 2.0, -v47
	v_fma_f32 v5, v51, 2.0, -v46
	v_sub_f32_e32 v51, v3, v5
	v_fma_f32 v5, v55, 2.0, -v44
	v_sub_f32_e32 v53, v15, v5
	v_fma_f32 v5, v67, 2.0, -v45
	v_fma_f32 v16, v52, 2.0, -v48
	v_sub_f32_e32 v52, v5, v16
	v_fma_f32 v14, v14, 2.0, -v50
	;; [unrolled: 3-line block ×3, first 2 shown]
	v_fma_f32 v56, v14, 2.0, -v54
	v_mad_u64_u32 v[14:15], s[0:1], s10, v20, 0
	v_fma_f32 v3, v3, 2.0, -v51
	s_movk_i32 s0, 0xc0
	v_sub_f32_e32 v55, v5, v3
	v_and_or_b32 v58, v0, s0, v4
	v_fma_f32 v57, v5, 2.0, -v55
	v_mad_u64_u32 v[16:17], s[0:1], s8, v58, 0
	v_mul_f32_e32 v3, v57, v28
	v_mov_b32_e32 v0, v15
	v_fma_f32 v5, v56, v22, -v3
	v_mad_u64_u32 v[3:4], s[0:1], s11, v20, v[0:1]
	v_mov_b32_e32 v0, v17
	v_mad_u64_u32 v[20:21], s[0:1], s9, v58, v[0:1]
	v_mov_b32_e32 v15, v3
	v_mov_b32_e32 v0, s17
	v_add_co_u32_e32 v3, vcc, s16, v1
	v_addc_co_u32_e32 v2, vcc, v0, v2, vcc
	v_lshlrev_b64 v[0:1], 3, v[14:15]
	v_mov_b32_e32 v17, v20
	v_add_co_u32_e32 v20, vcc, v3, v0
	v_addc_co_u32_e32 v21, vcc, v2, v1, vcc
	v_lshlrev_b64 v[0:1], 3, v[16:17]
	v_mul_f32_e32 v4, v56, v28
	v_add_co_u32_e32 v0, vcc, v20, v0
	v_fmac_f32_e32 v4, v57, v22
	v_addc_co_u32_e32 v1, vcc, v21, v1, vcc
	global_store_dwordx2 v[0:1], v[4:5], off
	v_mul_f32_e32 v0, v34, v11
	v_fma_f32 v4, v10, v31, -v0
	v_mul_f32_e32 v2, v31, v11
	v_mul_f32_e32 v0, v32, v9
	v_fmac_f32_e32 v2, v10, v34
	v_fma_f32 v10, v8, v33, -v0
	v_mul_f32_e32 v0, v36, v7
	v_fma_f32 v14, v6, v35, -v0
	v_mul_f32_e32 v0, v38, v13
	;; [unrolled: 2-line block ×3, first 2 shown]
	v_sub_f32_e32 v11, v25, v44
	v_add_f32_e32 v16, v26, v49
	v_mul_f32_e32 v15, v35, v7
	v_fmac_f32_e32 v0, v12, v38
	v_mul_f32_e32 v1, v40, v24
	v_sub_f32_e32 v12, v45, v46
	v_mov_b32_e32 v5, v11
	v_add_f32_e32 v13, v47, v48
	v_mov_b32_e32 v17, v16
	v_fmac_f32_e32 v15, v6, v36
	v_fma_f32 v6, v23, v39, -v1
	v_mul_f32_e32 v1, v42, v19
	v_fmac_f32_e32 v5, 0x3f3504f3, v12
	v_fmac_f32_e32 v17, 0x3f3504f3, v13
	v_fma_f32 v22, v18, v41, -v1
	v_mul_f32_e32 v1, v55, v0
	v_mul_f32_e32 v0, v54, v0
	v_fmac_f32_e32 v5, 0xbf3504f3, v13
	v_fmac_f32_e32 v17, 0x3f3504f3, v12
	v_mul_f32_e32 v7, v39, v24
	v_fma_f32 v1, v54, v3, -v1
	v_fmac_f32_e32 v0, v55, v3
	v_mul_f32_e32 v3, v17, v2
	v_mul_f32_e32 v2, v5, v2
	;; [unrolled: 1-line block ×3, first 2 shown]
	v_fmac_f32_e32 v7, v23, v40
	v_fmac_f32_e32 v2, v17, v4
	v_fma_f32 v17, v16, 2.0, -v17
	v_fmac_f32_e32 v9, v8, v32
	v_mul_f32_e32 v8, v41, v19
	v_fma_f32 v3, v5, v4, -v3
	v_fma_f32 v4, v11, 2.0, -v5
	v_mul_f32_e32 v5, v17, v7
	v_fmac_f32_e32 v8, v18, v42
	v_fma_f32 v5, v4, v6, -v5
	v_mul_f32_e32 v4, v4, v7
	v_add_f32_e32 v18, v53, v52
	v_fmac_f32_e32 v4, v17, v6
	v_sub_f32_e32 v17, v50, v51
	v_mul_f32_e32 v6, v18, v9
	v_fma_f32 v7, v17, v10, -v6
	v_mul_f32_e32 v6, v17, v9
	v_fmac_f32_e32 v6, v18, v10
	v_fma_f32 v18, v53, 2.0, -v18
	v_fma_f32 v10, v50, 2.0, -v17
	v_mul_f32_e32 v9, v18, v8
	v_fma_f32 v9, v10, v22, -v9
	v_mul_f32_e32 v8, v10, v8
	v_fma_f32 v10, v45, 2.0, -v12
	v_fma_f32 v12, v26, 2.0, -v16
	;; [unrolled: 1-line block ×4, first 2 shown]
	v_mov_b32_e32 v16, v12
	v_mov_b32_e32 v13, v17
	v_fmac_f32_e32 v16, 0xbf3504f3, v11
	v_fmac_f32_e32 v13, 0xbf3504f3, v10
	;; [unrolled: 1-line block ×4, first 2 shown]
	v_mul_f32_e32 v10, v16, v15
	v_fma_f32 v11, v13, v14, -v10
	v_mul_f32_e32 v10, v13, v15
	v_fmac_f32_e32 v10, v16, v14
	v_fma_f32 v16, v12, 2.0, -v16
	v_mul_f32_e32 v12, v27, v30
	v_or_b32_e32 v14, 8, v58
	v_fma_f32 v17, v17, 2.0, -v13
	v_fma_f32 v19, v29, v43, -v12
	v_mad_u64_u32 v[12:13], s[0:1], s8, v14, 0
	v_mul_f32_e32 v23, v43, v30
	v_fmac_f32_e32 v23, v29, v27
	v_mad_u64_u32 v[13:14], s[0:1], s9, v14, v[13:14]
	v_mul_f32_e32 v15, v16, v23
	v_mul_f32_e32 v14, v17, v23
	v_fma_f32 v15, v17, v19, -v15
	v_fmac_f32_e32 v14, v16, v19
	v_or_b32_e32 v19, 16, v58
	v_lshlrev_b64 v[12:13], 3, v[12:13]
	v_mad_u64_u32 v[16:17], s[0:1], s8, v19, 0
	v_add_co_u32_e32 v12, vcc, v20, v12
	v_addc_co_u32_e32 v13, vcc, v21, v13, vcc
	global_store_dwordx2 v[12:13], v[14:15], off
	v_mov_b32_e32 v12, v17
	v_mad_u64_u32 v[12:13], s[0:1], s9, v19, v[12:13]
	v_or_b32_e32 v19, 24, v58
	v_mad_u64_u32 v[13:14], s[0:1], s8, v19, 0
	v_mov_b32_e32 v17, v12
	v_fmac_f32_e32 v8, v18, v22
	v_mov_b32_e32 v12, v14
	v_lshlrev_b64 v[15:16], 3, v[16:17]
	v_mad_u64_u32 v[17:18], s[0:1], s9, v19, v[12:13]
	v_add_co_u32_e32 v14, vcc, v20, v15
	v_addc_co_u32_e32 v15, vcc, v21, v16, vcc
	global_store_dwordx2 v[14:15], v[8:9], off
	v_mov_b32_e32 v14, v17
	v_lshlrev_b64 v[8:9], 3, v[13:14]
	v_or_b32_e32 v14, 32, v58
	v_mad_u64_u32 v[12:13], s[0:1], s8, v14, 0
	v_or_b32_e32 v16, 40, v58
	v_add_co_u32_e32 v8, vcc, v20, v8
	v_mad_u64_u32 v[13:14], s[0:1], s9, v14, v[13:14]
	v_mad_u64_u32 v[14:15], s[0:1], s8, v16, 0
	v_addc_co_u32_e32 v9, vcc, v21, v9, vcc
	global_store_dwordx2 v[8:9], v[4:5], off
	v_mov_b32_e32 v8, v15
	v_mad_u64_u32 v[8:9], s[0:1], s9, v16, v[8:9]
	v_lshlrev_b64 v[4:5], 3, v[12:13]
	v_add_co_u32_e32 v4, vcc, v20, v4
	v_addc_co_u32_e32 v5, vcc, v21, v5, vcc
	v_mov_b32_e32 v15, v8
	v_or_b32_e32 v8, 48, v58
	global_store_dwordx2 v[4:5], v[0:1], off
	v_mad_u64_u32 v[4:5], s[0:1], s8, v8, 0
	v_lshlrev_b64 v[0:1], 3, v[14:15]
	v_mad_u64_u32 v[8:9], s[0:1], s9, v8, v[5:6]
	v_or_b32_e32 v9, 56, v58
	v_mad_u64_u32 v[12:13], s[0:1], s8, v9, 0
	v_add_co_u32_e32 v0, vcc, v20, v0
	v_addc_co_u32_e32 v1, vcc, v21, v1, vcc
	v_mov_b32_e32 v5, v8
	global_store_dwordx2 v[0:1], v[10:11], off
	v_lshlrev_b64 v[0:1], 3, v[4:5]
	v_mov_b32_e32 v4, v13
	v_mad_u64_u32 v[4:5], s[0:1], s9, v9, v[4:5]
	v_add_co_u32_e32 v0, vcc, v20, v0
	v_addc_co_u32_e32 v1, vcc, v21, v1, vcc
	v_mov_b32_e32 v13, v4
	global_store_dwordx2 v[0:1], v[6:7], off
	v_lshlrev_b64 v[0:1], 3, v[12:13]
	v_add_co_u32_e32 v0, vcc, v20, v0
	v_addc_co_u32_e32 v1, vcc, v21, v1, vcc
	global_store_dwordx2 v[0:1], v[2:3], off
.LBB0_15:
	s_endpgm
	.section	.rodata,"a",@progbits
	.p2align	6, 0x0
	.amdhsa_kernel fft_rtc_back_len64_factors_8_8_wgs_256_tpt_8_sp_ip_CI_sbcc_twdbase8_3step_dirReg
		.amdhsa_group_segment_fixed_size 0
		.amdhsa_private_segment_fixed_size 0
		.amdhsa_kernarg_size 96
		.amdhsa_user_sgpr_count 6
		.amdhsa_user_sgpr_private_segment_buffer 1
		.amdhsa_user_sgpr_dispatch_ptr 0
		.amdhsa_user_sgpr_queue_ptr 0
		.amdhsa_user_sgpr_kernarg_segment_ptr 1
		.amdhsa_user_sgpr_dispatch_id 0
		.amdhsa_user_sgpr_flat_scratch_init 0
		.amdhsa_user_sgpr_private_segment_size 0
		.amdhsa_uses_dynamic_stack 0
		.amdhsa_system_sgpr_private_segment_wavefront_offset 0
		.amdhsa_system_sgpr_workgroup_id_x 1
		.amdhsa_system_sgpr_workgroup_id_y 0
		.amdhsa_system_sgpr_workgroup_id_z 0
		.amdhsa_system_sgpr_workgroup_info 0
		.amdhsa_system_vgpr_workitem_id 0
		.amdhsa_next_free_vgpr 68
		.amdhsa_next_free_sgpr 43
		.amdhsa_reserve_vcc 1
		.amdhsa_reserve_flat_scratch 0
		.amdhsa_float_round_mode_32 0
		.amdhsa_float_round_mode_16_64 0
		.amdhsa_float_denorm_mode_32 3
		.amdhsa_float_denorm_mode_16_64 3
		.amdhsa_dx10_clamp 1
		.amdhsa_ieee_mode 1
		.amdhsa_fp16_overflow 0
		.amdhsa_exception_fp_ieee_invalid_op 0
		.amdhsa_exception_fp_denorm_src 0
		.amdhsa_exception_fp_ieee_div_zero 0
		.amdhsa_exception_fp_ieee_overflow 0
		.amdhsa_exception_fp_ieee_underflow 0
		.amdhsa_exception_fp_ieee_inexact 0
		.amdhsa_exception_int_div_zero 0
	.end_amdhsa_kernel
	.text
.Lfunc_end0:
	.size	fft_rtc_back_len64_factors_8_8_wgs_256_tpt_8_sp_ip_CI_sbcc_twdbase8_3step_dirReg, .Lfunc_end0-fft_rtc_back_len64_factors_8_8_wgs_256_tpt_8_sp_ip_CI_sbcc_twdbase8_3step_dirReg
                                        ; -- End function
	.section	.AMDGPU.csdata,"",@progbits
; Kernel info:
; codeLenInByte = 4320
; NumSgprs: 47
; NumVgprs: 68
; ScratchSize: 0
; MemoryBound: 0
; FloatMode: 240
; IeeeMode: 1
; LDSByteSize: 0 bytes/workgroup (compile time only)
; SGPRBlocks: 5
; VGPRBlocks: 16
; NumSGPRsForWavesPerEU: 47
; NumVGPRsForWavesPerEU: 68
; Occupancy: 3
; WaveLimiterHint : 1
; COMPUTE_PGM_RSRC2:SCRATCH_EN: 0
; COMPUTE_PGM_RSRC2:USER_SGPR: 6
; COMPUTE_PGM_RSRC2:TRAP_HANDLER: 0
; COMPUTE_PGM_RSRC2:TGID_X_EN: 1
; COMPUTE_PGM_RSRC2:TGID_Y_EN: 0
; COMPUTE_PGM_RSRC2:TGID_Z_EN: 0
; COMPUTE_PGM_RSRC2:TIDIG_COMP_CNT: 0
	.type	__hip_cuid_b459ae4bde8274c6,@object ; @__hip_cuid_b459ae4bde8274c6
	.section	.bss,"aw",@nobits
	.globl	__hip_cuid_b459ae4bde8274c6
__hip_cuid_b459ae4bde8274c6:
	.byte	0                               ; 0x0
	.size	__hip_cuid_b459ae4bde8274c6, 1

	.ident	"AMD clang version 19.0.0git (https://github.com/RadeonOpenCompute/llvm-project roc-6.4.0 25133 c7fe45cf4b819c5991fe208aaa96edf142730f1d)"
	.section	".note.GNU-stack","",@progbits
	.addrsig
	.addrsig_sym __hip_cuid_b459ae4bde8274c6
	.amdgpu_metadata
---
amdhsa.kernels:
  - .args:
      - .actual_access:  read_only
        .address_space:  global
        .offset:         0
        .size:           8
        .value_kind:     global_buffer
      - .address_space:  global
        .offset:         8
        .size:           8
        .value_kind:     global_buffer
      - .offset:         16
        .size:           8
        .value_kind:     by_value
      - .actual_access:  read_only
        .address_space:  global
        .offset:         24
        .size:           8
        .value_kind:     global_buffer
      - .actual_access:  read_only
        .address_space:  global
        .offset:         32
        .size:           8
        .value_kind:     global_buffer
      - .offset:         40
        .size:           8
        .value_kind:     by_value
      - .actual_access:  read_only
        .address_space:  global
        .offset:         48
        .size:           8
        .value_kind:     global_buffer
      - .actual_access:  read_only
        .address_space:  global
        .offset:         56
        .size:           8
        .value_kind:     global_buffer
      - .offset:         64
        .size:           4
        .value_kind:     by_value
      - .actual_access:  read_only
        .address_space:  global
        .offset:         72
        .size:           8
        .value_kind:     global_buffer
      - .actual_access:  read_only
        .address_space:  global
        .offset:         80
        .size:           8
        .value_kind:     global_buffer
      - .address_space:  global
        .offset:         88
        .size:           8
        .value_kind:     global_buffer
    .group_segment_fixed_size: 0
    .kernarg_segment_align: 8
    .kernarg_segment_size: 96
    .language:       OpenCL C
    .language_version:
      - 2
      - 0
    .max_flat_workgroup_size: 256
    .name:           fft_rtc_back_len64_factors_8_8_wgs_256_tpt_8_sp_ip_CI_sbcc_twdbase8_3step_dirReg
    .private_segment_fixed_size: 0
    .sgpr_count:     47
    .sgpr_spill_count: 0
    .symbol:         fft_rtc_back_len64_factors_8_8_wgs_256_tpt_8_sp_ip_CI_sbcc_twdbase8_3step_dirReg.kd
    .uniform_work_group_size: 1
    .uses_dynamic_stack: false
    .vgpr_count:     68
    .vgpr_spill_count: 0
    .wavefront_size: 64
amdhsa.target:   amdgcn-amd-amdhsa--gfx906
amdhsa.version:
  - 1
  - 2
...

	.end_amdgpu_metadata
